;; amdgpu-corpus repo=ROCm/rocFFT kind=compiled arch=gfx906 opt=O3
	.text
	.amdgcn_target "amdgcn-amd-amdhsa--gfx906"
	.amdhsa_code_object_version 6
	.protected	bluestein_single_fwd_len384_dim1_dp_op_CI_CI ; -- Begin function bluestein_single_fwd_len384_dim1_dp_op_CI_CI
	.globl	bluestein_single_fwd_len384_dim1_dp_op_CI_CI
	.p2align	8
	.type	bluestein_single_fwd_len384_dim1_dp_op_CI_CI,@function
bluestein_single_fwd_len384_dim1_dp_op_CI_CI: ; @bluestein_single_fwd_len384_dim1_dp_op_CI_CI
; %bb.0:
	s_load_dwordx4 s[16:19], s[4:5], 0x28
	v_lshrrev_b32_e32 v48, 5, v0
	v_lshl_or_b32 v156, s6, 2, v48
	v_mov_b32_e32 v157, 0
	s_waitcnt lgkmcnt(0)
	v_cmp_gt_u64_e32 vcc, s[16:17], v[156:157]
	s_and_saveexec_b64 s[0:1], vcc
	s_cbranch_execz .LBB0_2
; %bb.1:
	s_load_dwordx4 s[0:3], s[4:5], 0x18
	s_load_dwordx4 s[8:11], s[4:5], 0x0
	v_and_b32_e32 v159, 31, v0
	v_mov_b32_e32 v7, s19
	v_lshlrev_b32_e32 v157, 4, v159
	s_waitcnt lgkmcnt(0)
	s_load_dwordx4 s[12:15], s[0:1], 0x0
	s_add_u32 s6, s8, 0x1800
	s_addc_u32 s7, s9, 0
	v_mov_b32_e32 v160, 0xffffee00
	v_or_b32_e32 v167, 0x1000, v157
	s_waitcnt lgkmcnt(0)
	v_mad_u64_u32 v[0:1], s[0:1], s14, v156, 0
	v_mad_u64_u32 v[2:3], s[0:1], s12, v159, 0
	v_or_b32_e32 v166, 0x1400, v157
	v_or_b32_e32 v165, 0x1200, v157
	v_mad_u64_u32 v[4:5], s[0:1], s15, v156, v[1:2]
	v_or_b32_e32 v158, 0x1600, v157
	v_mul_u32_u24_e32 v120, 0x180, v48
	v_mad_u64_u32 v[5:6], s[0:1], s13, v159, v[3:4]
	v_mov_b32_e32 v1, v4
	v_lshlrev_b64 v[0:1], 4, v[0:1]
	v_mov_b32_e32 v3, v5
	v_add_co_u32_e32 v4, vcc, s18, v0
	v_addc_co_u32_e32 v5, vcc, v7, v1, vcc
	v_lshlrev_b64 v[0:1], 4, v[2:3]
	s_lshl_b64 s[0:1], s[12:13], 10
	v_add_co_u32_e32 v4, vcc, v4, v0
	v_addc_co_u32_e32 v5, vcc, v5, v1, vcc
	v_mov_b32_e32 v46, s1
	v_add_co_u32_e32 v12, vcc, s0, v4
	v_addc_co_u32_e32 v13, vcc, v5, v46, vcc
	v_add_co_u32_e32 v14, vcc, s0, v12
	global_load_dwordx4 v[49:52], v[4:5], off
	global_load_dwordx4 v[0:3], v157, s[8:9]
	v_addc_co_u32_e32 v15, vcc, v13, v46, vcc
	global_load_dwordx4 v[4:7], v157, s[8:9] offset:1024
	global_load_dwordx4 v[53:56], v[12:13], off
	global_load_dwordx4 v[57:60], v[14:15], off
	global_load_dwordx4 v[8:11], v157, s[8:9] offset:2048
	v_add_co_u32_e32 v12, vcc, s0, v14
	v_addc_co_u32_e32 v13, vcc, v15, v46, vcc
	global_load_dwordx4 v[16:19], v157, s[8:9] offset:3072
	v_add_co_u32_e32 v20, vcc, s0, v12
	v_addc_co_u32_e32 v21, vcc, v13, v46, vcc
	global_load_dwordx4 v[61:64], v[12:13], off
	global_load_dwordx4 v[65:68], v[20:21], off
	v_add_co_u32_e32 v20, vcc, s0, v20
	v_addc_co_u32_e32 v21, vcc, v21, v46, vcc
	v_mad_u64_u32 v[28:29], s[14:15], s12, v160, v[20:21]
	s_mul_i32 s1, s13, 0xffffee00
	global_load_dwordx4 v[12:15], v167, s[8:9]
	global_load_dwordx4 v[24:27], v166, s[8:9]
	s_sub_i32 s1, s1, s12
	global_load_dwordx4 v[69:72], v[20:21], off
	v_add_u32_e32 v29, s1, v29
	v_add_co_u32_e32 v32, vcc, s0, v28
	global_load_dwordx4 v[73:76], v[28:29], off
	global_load_dwordx4 v[20:23], v157, s[8:9] offset:512
	v_addc_co_u32_e32 v33, vcc, v29, v46, vcc
	global_load_dwordx4 v[77:80], v[32:33], off
	global_load_dwordx4 v[28:31], v157, s[8:9] offset:1536
	v_add_co_u32_e32 v36, vcc, s0, v32
	v_addc_co_u32_e32 v37, vcc, v33, v46, vcc
	v_add_co_u32_e32 v40, vcc, s0, v36
	v_addc_co_u32_e32 v41, vcc, v37, v46, vcc
	v_add_co_u32_e32 v44, vcc, s0, v40
	global_load_dwordx4 v[81:84], v[36:37], off
	global_load_dwordx4 v[32:35], v157, s[8:9] offset:2560
	v_addc_co_u32_e32 v45, vcc, v41, v46, vcc
	global_load_dwordx4 v[85:88], v[40:41], off
	global_load_dwordx4 v[36:39], v157, s[8:9] offset:3584
	global_load_dwordx4 v[89:92], v[44:45], off
	v_add_co_u32_e32 v44, vcc, s0, v44
	global_load_dwordx4 v[40:43], v165, s[8:9]
	v_addc_co_u32_e32 v45, vcc, v45, v46, vcc
	global_load_dwordx4 v[93:96], v[44:45], off
	s_load_dwordx4 s[0:3], s[2:3], 0x0
	global_load_dwordx4 v[44:47], v158, s[8:9]
	v_lshl_or_b32 v161, v120, 4, v157
	s_mov_b32 s8, 0xe8584caa
	s_mov_b32 s9, 0x3febb67a
	;; [unrolled: 1-line block ×4, first 2 shown]
	v_mul_lo_u16_e32 v119, 43, v159
	v_or_b32_e32 v154, 64, v159
	v_mul_lo_u16_e32 v155, 43, v154
	v_cmp_gt_u32_e32 vcc, 24, v159
	s_load_dwordx2 s[4:5], s[4:5], 0x38
	s_waitcnt vmcnt(22)
	v_mul_f64 v[97:98], v[51:52], v[2:3]
	v_mul_f64 v[99:100], v[49:50], v[2:3]
	s_waitcnt vmcnt(20)
	v_mul_f64 v[101:102], v[55:56], v[6:7]
	v_mul_f64 v[103:104], v[53:54], v[6:7]
	;; [unrolled: 3-line block ×3, first 2 shown]
	v_fma_f64 v[48:49], v[49:50], v[0:1], v[97:98]
	v_fma_f64 v[50:51], v[51:52], v[0:1], -v[99:100]
	v_fma_f64 v[52:53], v[53:54], v[4:5], v[101:102]
	v_fma_f64 v[54:55], v[55:56], v[4:5], -v[103:104]
	s_waitcnt vmcnt(16)
	v_mul_f64 v[109:110], v[63:64], v[18:19]
	v_mul_f64 v[111:112], v[61:62], v[18:19]
	v_fma_f64 v[56:57], v[57:58], v[8:9], v[105:106]
	v_fma_f64 v[58:59], v[59:60], v[8:9], -v[107:108]
	v_fma_f64 v[60:61], v[61:62], v[16:17], v[109:110]
	v_fma_f64 v[62:63], v[63:64], v[16:17], -v[111:112]
	v_or_b32_e32 v64, v120, v159
	v_lshlrev_b32_e32 v162, 4, v64
	ds_write_b128 v162, v[48:51]
	ds_write_b128 v162, v[52:55] offset:1024
	s_waitcnt vmcnt(14)
	v_mul_f64 v[48:49], v[67:68], v[14:15]
	v_mul_f64 v[50:51], v[65:66], v[14:15]
	s_waitcnt vmcnt(12)
	v_mul_f64 v[52:53], v[71:72], v[26:27]
	v_mul_f64 v[54:55], v[69:70], v[26:27]
	ds_write_b128 v161, v[56:59] offset:2048
	ds_write_b128 v161, v[60:63] offset:3072
	s_waitcnt vmcnt(10)
	v_mul_f64 v[56:57], v[75:76], v[22:23]
	v_mul_f64 v[58:59], v[73:74], v[22:23]
	s_waitcnt vmcnt(8)
	v_mul_f64 v[60:61], v[79:80], v[30:31]
	v_mul_f64 v[62:63], v[77:78], v[30:31]
	v_fma_f64 v[48:49], v[65:66], v[12:13], v[48:49]
	v_fma_f64 v[50:51], v[67:68], v[12:13], -v[50:51]
	v_fma_f64 v[52:53], v[69:70], v[24:25], v[52:53]
	v_fma_f64 v[54:55], v[71:72], v[24:25], -v[54:55]
	;; [unrolled: 2-line block ×4, first 2 shown]
	s_waitcnt vmcnt(6)
	v_mul_f64 v[64:65], v[83:84], v[34:35]
	v_mul_f64 v[66:67], v[81:82], v[34:35]
	s_waitcnt vmcnt(4)
	v_mul_f64 v[68:69], v[87:88], v[38:39]
	v_mul_f64 v[70:71], v[85:86], v[38:39]
	;; [unrolled: 3-line block ×3, first 2 shown]
	v_fma_f64 v[64:65], v[81:82], v[32:33], v[64:65]
	v_fma_f64 v[66:67], v[83:84], v[32:33], -v[66:67]
	v_fma_f64 v[68:69], v[85:86], v[36:37], v[68:69]
	s_waitcnt vmcnt(0)
	v_mul_f64 v[76:77], v[95:96], v[46:47]
	v_mul_f64 v[78:79], v[93:94], v[46:47]
	v_fma_f64 v[70:71], v[87:88], v[36:37], -v[70:71]
	v_fma_f64 v[72:73], v[89:90], v[40:41], v[72:73]
	v_fma_f64 v[74:75], v[91:92], v[40:41], -v[74:75]
	v_or_b32_e32 v92, 32, v159
	v_mul_lo_u16_e32 v152, 43, v92
	v_lshrrev_b16_e32 v202, 10, v152
	v_fma_f64 v[76:77], v[93:94], v[44:45], v[76:77]
	v_fma_f64 v[78:79], v[95:96], v[44:45], -v[78:79]
	ds_write_b128 v161, v[48:51] offset:4096
	ds_write_b128 v161, v[52:55] offset:5120
	ds_write_b128 v162, v[56:59] offset:512
	ds_write_b128 v162, v[60:63] offset:1536
	ds_write_b128 v161, v[64:67] offset:2560
	ds_write_b128 v161, v[68:71] offset:3584
	ds_write_b128 v161, v[72:75] offset:4608
	ds_write_b128 v161, v[76:79] offset:5632
	s_waitcnt lgkmcnt(0)
	s_barrier
	ds_read_b128 v[48:51], v161 offset:4096
	ds_read_b128 v[52:55], v161 offset:5120
	ds_read_b128 v[56:59], v162
	ds_read_b128 v[60:63], v161 offset:2048
	ds_read_b128 v[64:67], v162 offset:512
	;; [unrolled: 1-line block ×5, first 2 shown]
	s_waitcnt lgkmcnt(4)
	v_add_f64 v[97:98], v[60:61], v[48:49]
	ds_read_b128 v[80:83], v161 offset:4608
	ds_read_b128 v[84:87], v161 offset:5632
	s_waitcnt lgkmcnt(3)
	v_add_f64 v[101:102], v[72:73], v[52:53]
	v_add_f64 v[103:104], v[74:75], v[54:55]
	ds_read_b128 v[88:91], v162 offset:1024
	ds_read_b128 v[93:96], v162 offset:1536
	v_add_f64 v[99:100], v[56:57], v[60:61]
	v_add_f64 v[105:106], v[74:75], -v[54:55]
	v_fma_f64 v[56:57], v[97:98], -0.5, v[56:57]
	v_add_f64 v[97:98], v[62:63], -v[50:51]
	v_add_f64 v[107:108], v[72:73], -v[52:53]
	s_waitcnt lgkmcnt(1)
	v_fma_f64 v[101:102], v[101:102], -0.5, v[88:89]
	v_fma_f64 v[103:104], v[103:104], -0.5, v[90:91]
	v_add_f64 v[111:112], v[62:63], v[50:51]
	v_add_f64 v[62:63], v[58:59], v[62:63]
	;; [unrolled: 1-line block ×3, first 2 shown]
	v_add_f64 v[48:49], v[60:61], -v[48:49]
	v_fma_f64 v[109:110], v[97:98], s[8:9], v[56:57]
	v_fma_f64 v[97:98], v[97:98], s[12:13], v[56:57]
	;; [unrolled: 1-line block ×6, first 2 shown]
	v_add_f64 v[60:61], v[88:89], v[72:73]
	v_add_f64 v[62:63], v[62:63], v[50:51]
	v_fma_f64 v[58:59], v[111:112], -0.5, v[58:59]
	v_add_f64 v[74:75], v[90:91], v[74:75]
	v_mul_f64 v[88:89], v[113:114], -0.5
	v_mul_f64 v[72:73], v[56:57], s[8:9]
	v_mul_f64 v[50:51], v[103:104], -0.5
	v_mul_f64 v[90:91], v[101:102], s[12:13]
	v_add_f64 v[60:61], v[60:61], v[52:53]
	v_add_f64 v[107:108], v[68:69], v[80:81]
	;; [unrolled: 1-line block ×3, first 2 shown]
	v_fma_f64 v[105:106], v[48:49], s[12:13], v[58:59]
	v_fma_f64 v[88:89], v[103:104], s[8:9], v[88:89]
	v_fma_f64 v[72:73], v[101:102], 0.5, v[72:73]
	v_fma_f64 v[103:104], v[113:114], s[12:13], v[50:51]
	v_add_f64 v[113:114], v[78:79], v[86:87]
	v_add_f64 v[74:75], v[74:75], v[54:55]
	v_fma_f64 v[90:91], v[56:57], 0.5, v[90:91]
	v_fma_f64 v[101:102], v[48:49], s[8:9], v[58:59]
	v_add_f64 v[48:49], v[99:100], v[60:61]
	v_add_f64 v[56:57], v[97:98], v[88:89]
	;; [unrolled: 1-line block ×3, first 2 shown]
	v_add_f64 v[60:61], v[99:100], -v[60:61]
	v_add_f64 v[72:73], v[109:110], -v[72:73]
	;; [unrolled: 1-line block ×3, first 2 shown]
	v_add_f64 v[97:98], v[64:65], v[68:69]
	v_fma_f64 v[64:65], v[107:108], -0.5, v[64:65]
	v_add_f64 v[99:100], v[70:71], -v[82:83]
	s_waitcnt lgkmcnt(0)
	v_fma_f64 v[107:108], v[111:112], -0.5, v[93:94]
	v_fma_f64 v[109:110], v[113:114], -0.5, v[95:96]
	v_add_f64 v[111:112], v[76:77], -v[84:85]
	v_add_f64 v[113:114], v[78:79], -v[86:87]
	v_add_f64 v[115:116], v[70:71], v[82:83]
	v_add_f64 v[70:71], v[66:67], v[70:71]
	v_add_f64 v[50:51], v[62:63], v[74:75]
	v_add_f64 v[62:63], v[62:63], -v[74:75]
	v_fma_f64 v[117:118], v[99:100], s[8:9], v[64:65]
	v_fma_f64 v[99:100], v[99:100], s[12:13], v[64:65]
	;; [unrolled: 1-line block ×6, first 2 shown]
	v_add_f64 v[82:83], v[70:71], v[82:83]
	v_add_f64 v[70:71], v[93:94], v[76:77]
	;; [unrolled: 1-line block ×3, first 2 shown]
	v_fma_f64 v[66:67], v[115:116], -0.5, v[66:67]
	v_add_f64 v[68:69], v[68:69], -v[80:81]
	v_mul_f64 v[76:77], v[64:65], s[8:9]
	v_mul_f64 v[93:94], v[107:108], s[12:13]
	v_add_f64 v[97:98], v[97:98], v[80:81]
	v_mul_f64 v[80:81], v[74:75], -0.5
	v_mul_f64 v[95:96], v[109:110], -0.5
	v_add_f64 v[84:85], v[70:71], v[84:85]
	v_add_f64 v[86:87], v[78:79], v[86:87]
	v_fma_f64 v[111:112], v[68:69], s[12:13], v[66:67]
	v_fma_f64 v[107:108], v[107:108], 0.5, v[76:77]
	v_fma_f64 v[115:116], v[64:65], 0.5, v[93:94]
	v_fma_f64 v[113:114], v[68:69], s[8:9], v[66:67]
	v_fma_f64 v[109:110], v[109:110], s[8:9], v[80:81]
	;; [unrolled: 1-line block ×3, first 2 shown]
	v_add_f64 v[54:55], v[105:106], v[90:91]
	v_add_f64 v[58:59], v[101:102], v[103:104]
	;; [unrolled: 1-line block ×6, first 2 shown]
	v_add_f64 v[74:75], v[105:106], -v[90:91]
	v_add_f64 v[76:77], v[99:100], v[109:110]
	v_add_f64 v[78:79], v[113:114], v[95:96]
	v_add_f64 v[90:91], v[101:102], -v[103:104]
	v_add_f64 v[80:81], v[97:98], -v[84:85]
	;; [unrolled: 1-line block ×5, first 2 shown]
	v_mul_u32_u24_e32 v97, 6, v159
	v_add_f64 v[93:94], v[99:100], -v[109:110]
	v_add_f64 v[95:96], v[113:114], -v[95:96]
	v_add_lshl_u32 v163, v120, v97, 4
	s_barrier
	ds_write_b128 v163, v[48:51]
	ds_write_b128 v163, v[52:55] offset:16
	ds_write_b128 v163, v[56:59] offset:32
	;; [unrolled: 1-line block ×5, first 2 shown]
	v_mul_u32_u24_e32 v48, 6, v92
	v_add_lshl_u32 v164, v120, v48, 4
	ds_write_b128 v164, v[64:67]
	ds_write_b128 v164, v[68:71] offset:16
	ds_write_b128 v164, v[76:79] offset:32
	;; [unrolled: 1-line block ×5, first 2 shown]
	v_mov_b32_e32 v76, 6
	v_mul_lo_u16_sdwa v48, v119, v76 dst_sel:DWORD dst_unused:UNUSED_PAD src0_sel:BYTE_1 src1_sel:DWORD
	v_sub_u16_e32 v151, v159, v48
	v_and_b32_e32 v48, 0xff, v151
	v_mad_u64_u32 v[72:73], s[14:15], v48, 48, s[10:11]
	v_mul_lo_u16_sdwa v56, v152, v76 dst_sel:DWORD dst_unused:UNUSED_PAD src0_sel:BYTE_1 src1_sel:DWORD
	v_sub_u16_e32 v56, v92, v56
	v_and_b32_e32 v153, 0xff, v56
	s_waitcnt lgkmcnt(0)
	s_barrier
	global_load_dwordx4 v[48:51], v[72:73], off offset:16
	global_load_dwordx4 v[52:55], v[72:73], off
	v_mad_u64_u32 v[74:75], s[14:15], v153, 48, s[10:11]
	global_load_dwordx4 v[64:67], v[72:73], off offset:32
	global_load_dwordx4 v[68:71], v[74:75], off
	global_load_dwordx4 v[60:63], v[74:75], off offset:16
	global_load_dwordx4 v[56:59], v[74:75], off offset:32
	v_mul_lo_u16_sdwa v72, v155, v76 dst_sel:DWORD dst_unused:UNUSED_PAD src0_sel:BYTE_1 src1_sel:DWORD
	v_sub_u16_e32 v72, v154, v72
	v_and_b32_e32 v170, 0xff, v72
	v_mad_u64_u32 v[84:85], s[14:15], v170, 48, s[10:11]
	global_load_dwordx4 v[80:83], v[84:85], off
	global_load_dwordx4 v[76:79], v[84:85], off offset:16
	global_load_dwordx4 v[72:75], v[84:85], off offset:32
	ds_read_b128 v[84:87], v162
	ds_read_b128 v[88:91], v162 offset:512
	ds_read_b128 v[93:96], v162 offset:3072
	;; [unrolled: 1-line block ×11, first 2 shown]
	s_movk_i32 s14, 0xff
	s_waitcnt vmcnt(0) lgkmcnt(0)
	s_barrier
	v_mul_f64 v[139:140], v[95:96], v[50:51]
	v_mul_f64 v[117:118], v[103:104], v[54:55]
	;; [unrolled: 1-line block ×8, first 2 shown]
	v_fma_f64 v[93:94], v[93:94], v[48:49], -v[139:140]
	v_fma_f64 v[101:102], v[101:102], v[52:53], -v[117:118]
	v_fma_f64 v[103:104], v[103:104], v[52:53], v[137:138]
	v_fma_f64 v[95:96], v[95:96], v[48:49], v[141:142]
	v_fma_f64 v[117:118], v[121:122], v[64:65], -v[143:144]
	v_fma_f64 v[121:122], v[123:124], v[64:65], v[145:146]
	v_mul_f64 v[123:124], v[99:100], v[62:63]
	v_mul_f64 v[137:138], v[97:98], v[62:63]
	;; [unrolled: 1-line block ×4, first 2 shown]
	v_add_f64 v[143:144], v[84:85], -v[93:94]
	v_add_f64 v[145:146], v[86:87], -v[95:96]
	;; [unrolled: 1-line block ×4, first 2 shown]
	v_fma_f64 v[123:124], v[97:98], v[60:61], -v[123:124]
	v_fma_f64 v[137:138], v[99:100], v[60:61], v[137:138]
	v_fma_f64 v[129:130], v[129:130], v[56:57], -v[139:140]
	v_fma_f64 v[131:132], v[131:132], v[56:57], v[141:142]
	v_fma_f64 v[93:94], v[84:85], 2.0, -v[143:144]
	v_fma_f64 v[95:96], v[86:87], 2.0, -v[145:146]
	;; [unrolled: 1-line block ×4, first 2 shown]
	v_mul_f64 v[97:98], v[115:116], v[82:83]
	v_mul_f64 v[99:100], v[113:114], v[82:83]
	v_mul_f64 v[101:102], v[127:128], v[78:79]
	v_mul_f64 v[103:104], v[125:126], v[78:79]
	v_mul_f64 v[139:140], v[135:136], v[74:75]
	v_mul_f64 v[141:142], v[133:134], v[74:75]
	v_fma_f64 v[109:110], v[109:110], v[68:69], -v[147:148]
	v_fma_f64 v[111:112], v[111:112], v[68:69], v[149:150]
	v_fma_f64 v[113:114], v[113:114], v[80:81], -v[97:98]
	v_fma_f64 v[115:116], v[115:116], v[80:81], v[99:100]
	;; [unrolled: 2-line block ×4, first 2 shown]
	v_add_f64 v[97:98], v[143:144], -v[121:122]
	v_add_f64 v[99:100], v[145:146], v[117:118]
	v_add_f64 v[117:118], v[88:89], -v[123:124]
	v_add_f64 v[133:134], v[90:91], -v[137:138]
	v_add_f64 v[121:122], v[109:110], -v[129:130]
	v_add_f64 v[123:124], v[111:112], -v[131:132]
	v_add_f64 v[135:136], v[105:106], -v[101:102]
	v_add_f64 v[137:138], v[107:108], -v[103:104]
	v_add_f64 v[125:126], v[113:114], -v[125:126]
	v_add_f64 v[127:128], v[115:116], -v[127:128]
	v_add_f64 v[84:85], v[93:94], -v[84:85]
	v_add_f64 v[86:87], v[95:96], -v[86:87]
	v_fma_f64 v[129:130], v[88:89], 2.0, -v[117:118]
	v_fma_f64 v[131:132], v[90:91], 2.0, -v[133:134]
	;; [unrolled: 1-line block ×8, first 2 shown]
	v_add_f64 v[105:106], v[117:118], -v[123:124]
	v_fma_f64 v[93:94], v[93:94], 2.0, -v[84:85]
	v_fma_f64 v[95:96], v[95:96], 2.0, -v[86:87]
	;; [unrolled: 1-line block ×4, first 2 shown]
	v_add_f64 v[101:102], v[129:130], -v[101:102]
	v_add_f64 v[103:104], v[131:132], -v[103:104]
	;; [unrolled: 1-line block ×4, first 2 shown]
	v_add_f64 v[107:108], v[133:134], v[121:122]
	v_add_f64 v[113:114], v[135:136], -v[127:128]
	v_add_f64 v[115:116], v[137:138], v[125:126]
	v_fma_f64 v[125:126], v[117:118], 2.0, -v[105:106]
	v_mov_b32_e32 v117, 24
	v_mul_lo_u16_sdwa v118, v119, v117 dst_sel:DWORD dst_unused:UNUSED_PAD src0_sel:BYTE_1 src1_sel:DWORD
	v_or_b32_e32 v118, v118, v151
	v_and_or_b32 v118, v118, s14, v120
	v_lshlrev_b32_e32 v168, 4, v118
	ds_write_b128 v168, v[93:96]
	ds_write_b128 v168, v[88:91] offset:96
	ds_write_b128 v168, v[84:87] offset:192
	;; [unrolled: 1-line block ×3, first 2 shown]
	v_mul_u32_u24_sdwa v84, v152, v117 dst_sel:DWORD dst_unused:UNUSED_PAD src0_sel:BYTE_1 src1_sel:DWORD
	v_fma_f64 v[121:122], v[129:130], 2.0, -v[101:102]
	v_fma_f64 v[123:124], v[131:132], 2.0, -v[103:104]
	v_fma_f64 v[129:130], v[139:140], 2.0, -v[109:110]
	v_fma_f64 v[131:132], v[141:142], 2.0, -v[111:112]
	v_or_b32_e32 v84, v84, v153
	v_fma_f64 v[127:128], v[133:134], 2.0, -v[107:108]
	v_fma_f64 v[133:134], v[135:136], 2.0, -v[113:114]
	;; [unrolled: 1-line block ×3, first 2 shown]
	v_add_lshl_u32 v169, v120, v84, 4
	v_mul_u32_u24_sdwa v84, v155, v117 dst_sel:DWORD dst_unused:UNUSED_PAD src0_sel:BYTE_1 src1_sel:DWORD
	v_or_b32_e32 v84, v84, v170
	v_add_lshl_u32 v170, v120, v84, 4
	v_subrev_u32_e32 v84, 24, v159
	v_cndmask_b32_e32 v201, v84, v159, vcc
	v_mul_i32_i24_e32 v85, 48, v201
	v_mul_hi_i32_i24_e32 v84, 48, v201
	v_mov_b32_e32 v86, s11
	v_add_co_u32_e32 v93, vcc, s10, v85
	v_mul_lo_u16_e32 v95, 24, v202
	v_addc_co_u32_e32 v94, vcc, v86, v84, vcc
	v_sub_u16_e32 v92, v92, v95
	ds_write_b128 v169, v[121:124]
	ds_write_b128 v169, v[125:128] offset:96
	ds_write_b128 v169, v[101:104] offset:192
	;; [unrolled: 1-line block ×3, first 2 shown]
	ds_write_b128 v170, v[129:132]
	ds_write_b128 v170, v[133:136] offset:96
	ds_write_b128 v170, v[109:112] offset:192
	;; [unrolled: 1-line block ×3, first 2 shown]
	s_waitcnt lgkmcnt(0)
	s_barrier
	global_load_dwordx4 v[84:87], v[93:94], off offset:304
	global_load_dwordx4 v[88:91], v[93:94], off offset:288
	v_and_b32_e32 v203, 0xff, v92
	v_mad_u64_u32 v[104:105], s[14:15], v203, 48, s[10:11]
	global_load_dwordx4 v[100:103], v[93:94], off offset:320
	global_load_dwordx4 v[108:111], v[104:105], off offset:288
                                        ; kill: killed $vgpr93 killed $vgpr94
	global_load_dwordx4 v[96:99], v[104:105], off offset:304
	s_nop 0
	global_load_dwordx4 v[92:95], v[104:105], off offset:320
	v_lshrrev_b16_e32 v155, 10, v155
	v_mul_lo_u16_e32 v104, 24, v155
	v_sub_u16_e32 v104, v154, v104
	v_and_b32_e32 v204, 0xff, v104
	v_mad_u64_u32 v[104:105], s[14:15], v204, 48, s[10:11]
	global_load_dwordx4 v[116:119], v[104:105], off offset:288
	global_load_dwordx4 v[112:115], v[104:105], off offset:304
	s_nop 0
	global_load_dwordx4 v[104:107], v[104:105], off offset:320
	ds_read_b128 v[121:124], v162
	ds_read_b128 v[125:128], v162 offset:512
	ds_read_b128 v[129:132], v162 offset:3072
	;; [unrolled: 1-line block ×11, first 2 shown]
	v_cmp_lt_u32_e32 vcc, 23, v159
	s_waitcnt vmcnt(0) lgkmcnt(0)
	s_barrier
	v_mul_f64 v[189:190], v[131:132], v[86:87]
	v_mul_f64 v[153:154], v[139:140], v[90:91]
	;; [unrolled: 1-line block ×8, first 2 shown]
	v_fma_f64 v[129:130], v[129:130], v[84:85], -v[189:190]
	v_fma_f64 v[137:138], v[137:138], v[88:89], -v[153:154]
	v_fma_f64 v[139:140], v[139:140], v[88:89], v[187:188]
	v_fma_f64 v[131:132], v[131:132], v[84:85], v[191:192]
	v_fma_f64 v[153:154], v[171:172], v[100:101], -v[193:194]
	v_fma_f64 v[171:172], v[173:174], v[100:101], v[195:196]
	v_mul_f64 v[173:174], v[135:136], v[98:99]
	v_mul_f64 v[187:188], v[133:134], v[98:99]
	;; [unrolled: 1-line block ×4, first 2 shown]
	v_add_f64 v[193:194], v[121:122], -v[129:130]
	v_add_f64 v[195:196], v[123:124], -v[131:132]
	;; [unrolled: 1-line block ×4, first 2 shown]
	v_fma_f64 v[173:174], v[133:134], v[96:97], -v[173:174]
	v_fma_f64 v[187:188], v[135:136], v[96:97], v[187:188]
	v_fma_f64 v[179:180], v[179:180], v[92:93], -v[189:190]
	v_fma_f64 v[181:182], v[181:182], v[92:93], v[191:192]
	v_fma_f64 v[129:130], v[121:122], 2.0, -v[193:194]
	v_fma_f64 v[131:132], v[123:124], 2.0, -v[195:196]
	;; [unrolled: 1-line block ×4, first 2 shown]
	v_mul_f64 v[133:134], v[151:152], v[118:119]
	v_mul_f64 v[135:136], v[149:150], v[118:119]
	;; [unrolled: 1-line block ×6, first 2 shown]
	v_fma_f64 v[145:146], v[145:146], v[108:109], -v[197:198]
	v_fma_f64 v[147:148], v[147:148], v[108:109], v[199:200]
	v_fma_f64 v[149:150], v[149:150], v[116:117], -v[133:134]
	v_fma_f64 v[151:152], v[151:152], v[116:117], v[135:136]
	;; [unrolled: 2-line block ×4, first 2 shown]
	v_add_f64 v[133:134], v[193:194], -v[171:172]
	v_add_f64 v[135:136], v[195:196], v[153:154]
	v_add_f64 v[153:154], v[125:126], -v[173:174]
	v_add_f64 v[171:172], v[127:128], -v[187:188]
	;; [unrolled: 1-line block ×8, first 2 shown]
	v_fma_f64 v[181:182], v[125:126], 2.0, -v[153:154]
	v_fma_f64 v[183:184], v[127:128], 2.0, -v[171:172]
	;; [unrolled: 1-line block ×8, first 2 shown]
	v_add_f64 v[121:122], v[129:130], -v[121:122]
	v_add_f64 v[123:124], v[131:132], -v[123:124]
	;; [unrolled: 1-line block ×5, first 2 shown]
	v_add_f64 v[143:144], v[171:172], v[173:174]
	v_add_f64 v[145:146], v[185:186], -v[145:146]
	v_add_f64 v[147:148], v[191:192], -v[147:148]
	;; [unrolled: 1-line block ×3, first 2 shown]
	v_add_f64 v[151:152], v[189:190], v[175:176]
	v_fma_f64 v[129:130], v[129:130], 2.0, -v[121:122]
	v_fma_f64 v[131:132], v[131:132], 2.0, -v[123:124]
	;; [unrolled: 1-line block ×5, first 2 shown]
	v_mov_b32_e32 v153, 0x60
	v_cndmask_b32_e32 v153, 0, v153, vcc
	v_fma_f64 v[175:176], v[181:182], 2.0, -v[137:138]
	v_fma_f64 v[177:178], v[183:184], 2.0, -v[139:140]
	;; [unrolled: 1-line block ×4, first 2 shown]
	v_or_b32_e32 v153, v201, v153
	v_fma_f64 v[181:182], v[171:172], 2.0, -v[143:144]
	v_fma_f64 v[187:188], v[187:188], 2.0, -v[149:150]
	;; [unrolled: 1-line block ×3, first 2 shown]
	v_or_b32_e32 v154, v120, v153
	v_lshlrev_b32_e32 v174, 4, v154
	v_add_lshl_u32 v172, v120, v153, 4
	ds_write_b128 v174, v[129:132]
	ds_write_b128 v172, v[125:128] offset:384
	ds_write_b128 v172, v[121:124] offset:768
	;; [unrolled: 1-line block ×3, first 2 shown]
	v_mul_u32_u24_e32 v121, 0x60, v202
	v_or_b32_e32 v121, v121, v203
	v_add_lshl_u32 v171, v120, v121, 4
	v_mul_u32_u24_e32 v121, 0x60, v155
	v_or_b32_e32 v121, v121, v204
	v_add_lshl_u32 v173, v120, v121, 4
	ds_write_b128 v171, v[175:178]
	ds_write_b128 v171, v[179:182] offset:384
	ds_write_b128 v171, v[137:140] offset:768
	;; [unrolled: 1-line block ×3, first 2 shown]
	ds_write_b128 v173, v[183:186]
	ds_write_b128 v173, v[187:190] offset:384
	ds_write_b128 v173, v[145:148] offset:768
	;; [unrolled: 1-line block ×3, first 2 shown]
	v_mad_u64_u32 v[148:149], s[10:11], v159, 48, s[10:11]
	s_waitcnt lgkmcnt(0)
	s_barrier
	global_load_dwordx4 v[128:131], v[148:149], off offset:1440
	global_load_dwordx4 v[124:127], v[148:149], off offset:1456
	;; [unrolled: 1-line block ×6, first 2 shown]
	s_movk_i32 s10, 0x1000
	v_add_co_u32_e32 v140, vcc, s10, v148
	s_movk_i32 s11, 0x11a0
	v_addc_co_u32_e32 v141, vcc, 0, v149, vcc
	v_add_co_u32_e32 v148, vcc, s11, v148
	v_addc_co_u32_e32 v149, vcc, 0, v149, vcc
	global_load_dwordx4 v[140:143], v[140:141], off offset:416
	s_nop 0
	global_load_dwordx4 v[152:155], v[148:149], off offset:16
	s_nop 0
	global_load_dwordx4 v[148:151], v[148:149], off offset:32
	ds_read_b128 v[175:178], v162
	ds_read_b128 v[179:182], v162 offset:512
	ds_read_b128 v[183:186], v162 offset:3072
	;; [unrolled: 1-line block ×11, first 2 shown]
	s_waitcnt vmcnt(8) lgkmcnt(7)
	v_mul_f64 v[223:224], v[193:194], v[130:131]
	v_mul_f64 v[225:226], v[191:192], v[130:131]
	s_waitcnt vmcnt(7)
	v_mul_f64 v[227:228], v[185:186], v[126:127]
	v_mul_f64 v[229:230], v[183:184], v[126:127]
	s_waitcnt vmcnt(6) lgkmcnt(3)
	v_mul_f64 v[231:232], v[209:210], v[122:123]
	v_mul_f64 v[233:234], v[207:208], v[122:123]
	s_waitcnt vmcnt(5)
	v_mul_f64 v[235:236], v[201:202], v[146:147]
	v_mul_f64 v[237:238], v[199:200], v[146:147]
	v_fma_f64 v[191:192], v[191:192], v[128:129], -v[223:224]
	v_fma_f64 v[193:194], v[193:194], v[128:129], v[225:226]
	v_fma_f64 v[183:184], v[183:184], v[124:125], -v[227:228]
	v_fma_f64 v[185:186], v[185:186], v[124:125], v[229:230]
	;; [unrolled: 2-line block ×3, first 2 shown]
	s_waitcnt vmcnt(4)
	v_mul_f64 v[223:224], v[189:190], v[138:139]
	v_mul_f64 v[225:226], v[187:188], v[138:139]
	s_waitcnt vmcnt(3) lgkmcnt(1)
	v_mul_f64 v[227:228], v[217:218], v[134:135]
	v_mul_f64 v[229:230], v[215:216], v[134:135]
	v_add_f64 v[231:232], v[175:176], -v[183:184]
	v_add_f64 v[233:234], v[177:178], -v[185:186]
	;; [unrolled: 1-line block ×4, first 2 shown]
	v_fma_f64 v[223:224], v[187:188], v[136:137], -v[223:224]
	v_fma_f64 v[225:226], v[189:190], v[136:137], v[225:226]
	v_fma_f64 v[215:216], v[215:216], v[132:133], -v[227:228]
	v_fma_f64 v[217:218], v[217:218], v[132:133], v[229:230]
	v_fma_f64 v[183:184], v[175:176], 2.0, -v[231:232]
	v_fma_f64 v[185:186], v[177:178], 2.0, -v[233:234]
	;; [unrolled: 1-line block ×4, first 2 shown]
	s_waitcnt vmcnt(2)
	v_mul_f64 v[187:188], v[205:206], v[142:143]
	v_mul_f64 v[189:190], v[203:204], v[142:143]
	s_waitcnt vmcnt(1)
	v_mul_f64 v[191:192], v[213:214], v[154:155]
	v_mul_f64 v[193:194], v[211:212], v[154:155]
	s_waitcnt vmcnt(0) lgkmcnt(0)
	v_mul_f64 v[227:228], v[221:222], v[150:151]
	v_mul_f64 v[229:230], v[219:220], v[150:151]
	v_fma_f64 v[199:200], v[199:200], v[144:145], -v[235:236]
	v_fma_f64 v[201:202], v[201:202], v[144:145], v[237:238]
	v_fma_f64 v[203:204], v[203:204], v[140:141], -v[187:188]
	v_fma_f64 v[205:206], v[205:206], v[140:141], v[189:190]
	;; [unrolled: 2-line block ×4, first 2 shown]
	v_add_f64 v[187:188], v[231:232], -v[209:210]
	v_add_f64 v[189:190], v[233:234], v[207:208]
	v_add_f64 v[219:220], v[179:180], -v[223:224]
	v_add_f64 v[221:222], v[181:182], -v[225:226]
	;; [unrolled: 1-line block ×8, first 2 shown]
	v_fma_f64 v[215:216], v[179:180], 2.0, -v[219:220]
	v_fma_f64 v[217:218], v[181:182], 2.0, -v[221:222]
	;; [unrolled: 1-line block ×4, first 2 shown]
	v_add_f64 v[175:176], v[183:184], -v[175:176]
	v_add_f64 v[177:178], v[185:186], -v[177:178]
	v_fma_f64 v[227:228], v[195:196], 2.0, -v[223:224]
	v_fma_f64 v[229:230], v[197:198], 2.0, -v[225:226]
	;; [unrolled: 1-line block ×4, first 2 shown]
	v_add_f64 v[191:192], v[215:216], -v[191:192]
	v_add_f64 v[193:194], v[217:218], -v[193:194]
	;; [unrolled: 1-line block ×3, first 2 shown]
	v_add_f64 v[197:198], v[221:222], v[207:208]
	v_fma_f64 v[183:184], v[183:184], 2.0, -v[175:176]
	v_fma_f64 v[185:186], v[185:186], 2.0, -v[177:178]
	v_add_f64 v[199:200], v[227:228], -v[199:200]
	v_add_f64 v[201:202], v[229:230], -v[201:202]
	;; [unrolled: 1-line block ×3, first 2 shown]
	v_add_f64 v[205:206], v[225:226], v[211:212]
	v_fma_f64 v[179:180], v[231:232], 2.0, -v[187:188]
	v_fma_f64 v[181:182], v[233:234], 2.0, -v[189:190]
	;; [unrolled: 1-line block ×10, first 2 shown]
	ds_write_b128 v162, v[183:186]
	ds_write_b128 v162, v[179:182] offset:1536
	ds_write_b128 v161, v[175:178] offset:3072
	;; [unrolled: 1-line block ×11, first 2 shown]
	s_waitcnt lgkmcnt(0)
	s_barrier
	global_load_dwordx4 v[175:178], v157, s[6:7]
	global_load_dwordx4 v[179:182], v157, s[6:7] offset:1024
	global_load_dwordx4 v[183:186], v157, s[6:7] offset:2048
	;; [unrolled: 1-line block ×3, first 2 shown]
	global_load_dwordx4 v[191:194], v167, s[6:7]
	global_load_dwordx4 v[195:198], v166, s[6:7]
	ds_read_b128 v[199:202], v162
	ds_read_b128 v[203:206], v162 offset:1024
	s_waitcnt vmcnt(5) lgkmcnt(1)
	v_mul_f64 v[166:167], v[201:202], v[177:178]
	v_mul_f64 v[177:178], v[199:200], v[177:178]
	s_waitcnt vmcnt(4) lgkmcnt(0)
	v_mul_f64 v[207:208], v[205:206], v[181:182]
	v_mul_f64 v[181:182], v[203:204], v[181:182]
	v_fma_f64 v[199:200], v[199:200], v[175:176], -v[166:167]
	v_fma_f64 v[201:202], v[201:202], v[175:176], v[177:178]
	v_fma_f64 v[175:176], v[203:204], v[179:180], -v[207:208]
	v_fma_f64 v[177:178], v[205:206], v[179:180], v[181:182]
	global_load_dwordx4 v[179:182], v157, s[6:7] offset:512
	global_load_dwordx4 v[203:206], v157, s[6:7] offset:1536
	ds_write_b128 v162, v[199:202]
	ds_write_b128 v162, v[175:178] offset:1024
	ds_read_b128 v[175:178], v161 offset:2048
	s_waitcnt vmcnt(5) lgkmcnt(0)
	v_mul_f64 v[166:167], v[177:178], v[185:186]
	v_mul_f64 v[185:186], v[175:176], v[185:186]
	v_fma_f64 v[175:176], v[175:176], v[183:184], -v[166:167]
	v_fma_f64 v[177:178], v[177:178], v[183:184], v[185:186]
	global_load_dwordx4 v[183:186], v157, s[6:7] offset:2560
	ds_write_b128 v161, v[175:178] offset:2048
	ds_read_b128 v[175:178], v162 offset:3072
	s_waitcnt vmcnt(5) lgkmcnt(0)
	v_mul_f64 v[166:167], v[177:178], v[189:190]
	v_mul_f64 v[189:190], v[175:176], v[189:190]
	v_fma_f64 v[175:176], v[175:176], v[187:188], -v[166:167]
	v_fma_f64 v[177:178], v[177:178], v[187:188], v[189:190]
	global_load_dwordx4 v[187:190], v157, s[6:7] offset:3584
	ds_write_b128 v162, v[175:178] offset:3072
	ds_read_b128 v[175:178], v161 offset:4096
	ds_read_b128 v[199:202], v161 offset:5120
	s_waitcnt vmcnt(5) lgkmcnt(1)
	v_mul_f64 v[166:167], v[177:178], v[193:194]
	v_mul_f64 v[193:194], v[175:176], v[193:194]
	s_waitcnt vmcnt(4) lgkmcnt(0)
	v_mul_f64 v[207:208], v[201:202], v[197:198]
	v_mul_f64 v[197:198], v[199:200], v[197:198]
	v_fma_f64 v[175:176], v[175:176], v[191:192], -v[166:167]
	v_fma_f64 v[177:178], v[177:178], v[191:192], v[193:194]
	v_fma_f64 v[191:192], v[199:200], v[195:196], -v[207:208]
	v_fma_f64 v[193:194], v[201:202], v[195:196], v[197:198]
	global_load_dwordx4 v[195:198], v165, s[6:7]
	ds_write_b128 v161, v[175:178] offset:4096
	global_load_dwordx4 v[175:178], v158, s[6:7]
	ds_write_b128 v161, v[191:194] offset:5120
	ds_read_b128 v[191:194], v162 offset:512
	ds_read_b128 v[199:202], v162 offset:1536
	s_waitcnt vmcnt(5) lgkmcnt(1)
	v_mul_f64 v[157:158], v[193:194], v[181:182]
	v_mul_f64 v[165:166], v[191:192], v[181:182]
	s_waitcnt vmcnt(4) lgkmcnt(0)
	v_mul_f64 v[181:182], v[201:202], v[205:206]
	v_mul_f64 v[205:206], v[199:200], v[205:206]
	v_fma_f64 v[191:192], v[191:192], v[179:180], -v[157:158]
	v_fma_f64 v[193:194], v[193:194], v[179:180], v[165:166]
	v_fma_f64 v[179:180], v[199:200], v[203:204], -v[181:182]
	v_fma_f64 v[181:182], v[201:202], v[203:204], v[205:206]
	ds_write_b128 v162, v[191:194] offset:512
	ds_write_b128 v162, v[179:182] offset:1536
	ds_read_b128 v[179:182], v161 offset:2560
	s_waitcnt vmcnt(3) lgkmcnt(0)
	v_mul_f64 v[157:158], v[181:182], v[185:186]
	v_mul_f64 v[165:166], v[179:180], v[185:186]
	v_fma_f64 v[179:180], v[179:180], v[183:184], -v[157:158]
	v_fma_f64 v[181:182], v[181:182], v[183:184], v[165:166]
	ds_write_b128 v161, v[179:182] offset:2560
	ds_read_b128 v[179:182], v162 offset:3584
	s_waitcnt vmcnt(2) lgkmcnt(0)
	v_mul_f64 v[157:158], v[181:182], v[189:190]
	v_mul_f64 v[165:166], v[179:180], v[189:190]
	v_fma_f64 v[179:180], v[179:180], v[187:188], -v[157:158]
	v_fma_f64 v[181:182], v[181:182], v[187:188], v[165:166]
	ds_write_b128 v162, v[179:182] offset:3584
	ds_read_b128 v[179:182], v161 offset:4608
	ds_read_b128 v[183:186], v161 offset:5632
	s_waitcnt vmcnt(1) lgkmcnt(1)
	v_mul_f64 v[157:158], v[181:182], v[197:198]
	v_mul_f64 v[165:166], v[179:180], v[197:198]
	s_waitcnt vmcnt(0) lgkmcnt(0)
	v_mul_f64 v[187:188], v[185:186], v[177:178]
	v_mul_f64 v[189:190], v[183:184], v[177:178]
	v_fma_f64 v[177:178], v[179:180], v[195:196], -v[157:158]
	v_fma_f64 v[179:180], v[181:182], v[195:196], v[165:166]
	v_fma_f64 v[181:182], v[183:184], v[175:176], -v[187:188]
	v_fma_f64 v[183:184], v[185:186], v[175:176], v[189:190]
	ds_write_b128 v161, v[177:180] offset:4608
	ds_write_b128 v161, v[181:184] offset:5632
	s_waitcnt lgkmcnt(0)
	s_barrier
	ds_read_b128 v[175:178], v161 offset:4096
	ds_read_b128 v[179:182], v161 offset:2048
	;; [unrolled: 1-line block ×6, first 2 shown]
	s_waitcnt lgkmcnt(4)
	v_add_f64 v[157:158], v[179:180], v[175:176]
	ds_read_b128 v[199:202], v162
	ds_read_b128 v[203:206], v162 offset:3584
	ds_read_b128 v[207:210], v161 offset:5632
	;; [unrolled: 1-line block ×4, first 2 shown]
	s_waitcnt lgkmcnt(5)
	v_add_f64 v[165:166], v[197:198], v[185:186]
	s_waitcnt lgkmcnt(4)
	v_add_f64 v[223:224], v[199:200], v[179:180]
	v_add_f64 v[225:226], v[195:196], v[183:184]
	v_add_f64 v[227:228], v[195:196], -v[183:184]
	v_fma_f64 v[157:158], v[157:158], -0.5, v[199:200]
	v_add_f64 v[199:200], v[181:182], -v[177:178]
	v_add_f64 v[229:230], v[201:202], v[181:182]
	v_add_f64 v[181:182], v[181:182], v[177:178]
	s_waitcnt lgkmcnt(0)
	v_fma_f64 v[165:166], v[165:166], -0.5, v[217:218]
	v_add_f64 v[233:234], v[197:198], -v[185:186]
	v_fma_f64 v[225:226], v[225:226], -0.5, v[215:216]
	v_add_f64 v[223:224], v[223:224], v[175:176]
	v_add_f64 v[175:176], v[179:180], -v[175:176]
	v_fma_f64 v[231:232], v[199:200], s[12:13], v[157:158]
	v_fma_f64 v[235:236], v[199:200], s[8:9], v[157:158]
	v_add_f64 v[179:180], v[215:216], v[195:196]
	v_fma_f64 v[157:158], v[227:228], s[8:9], v[165:166]
	v_fma_f64 v[165:166], v[227:228], s[12:13], v[165:166]
	v_add_f64 v[227:228], v[229:230], v[177:178]
	v_fma_f64 v[177:178], v[181:182], -0.5, v[201:202]
	v_fma_f64 v[181:182], v[233:234], s[12:13], v[225:226]
	v_fma_f64 v[195:196], v[233:234], s[8:9], v[225:226]
	v_add_f64 v[197:198], v[217:218], v[197:198]
	v_add_f64 v[215:216], v[179:180], v[183:184]
	v_mul_f64 v[199:200], v[157:158], s[12:13]
	v_mul_f64 v[201:202], v[165:166], s[12:13]
	v_mul_f64 v[165:166], v[165:166], -0.5
	v_add_f64 v[233:234], v[187:188], v[191:192]
	v_add_f64 v[237:238], v[205:206], v[209:210]
	ds_read_b128 v[219:222], v162 offset:1536
	v_add_f64 v[197:198], v[197:198], v[185:186]
	v_fma_f64 v[217:218], v[175:176], s[8:9], v[177:178]
	v_fma_f64 v[199:200], v[181:182], 0.5, v[199:200]
	v_fma_f64 v[201:202], v[195:196], -0.5, v[201:202]
	v_fma_f64 v[225:226], v[175:176], s[12:13], v[177:178]
	v_fma_f64 v[165:166], v[195:196], s[8:9], v[165:166]
	v_add_f64 v[175:176], v[223:224], v[215:216]
	v_add_f64 v[195:196], v[223:224], -v[215:216]
	v_add_f64 v[223:224], v[211:212], v[187:188]
	v_add_f64 v[177:178], v[227:228], v[197:198]
	;; [unrolled: 1-line block ×4, first 2 shown]
	v_add_f64 v[199:200], v[231:232], -v[199:200]
	v_add_f64 v[215:216], v[235:236], -v[201:202]
	v_fma_f64 v[201:202], v[233:234], -0.5, v[211:212]
	v_add_f64 v[211:212], v[203:204], v[207:208]
	v_add_f64 v[231:232], v[189:190], v[193:194]
	s_waitcnt lgkmcnt(0)
	v_fma_f64 v[233:234], v[237:238], -0.5, v[221:222]
	v_add_f64 v[235:236], v[203:204], -v[207:208]
	v_add_f64 v[197:198], v[227:228], -v[197:198]
	;; [unrolled: 1-line block ×3, first 2 shown]
	v_add_f64 v[189:190], v[213:214], v[189:190]
	v_mul_f64 v[157:158], v[157:158], 0.5
	v_fma_f64 v[211:212], v[211:212], -0.5, v[219:220]
	v_fma_f64 v[213:214], v[231:232], -0.5, v[213:214]
	v_add_f64 v[231:232], v[205:206], -v[209:210]
	v_fma_f64 v[237:238], v[235:236], s[8:9], v[233:234]
	v_fma_f64 v[233:234], v[235:236], s[12:13], v[233:234]
	v_add_f64 v[205:206], v[221:222], v[205:206]
	v_add_f64 v[239:240], v[189:190], v[193:194]
	;; [unrolled: 1-line block ×4, first 2 shown]
	v_fma_f64 v[235:236], v[227:228], s[12:13], v[201:202]
	v_fma_f64 v[227:228], v[227:228], s[8:9], v[201:202]
	v_add_f64 v[187:188], v[187:188], -v[191:192]
	v_fma_f64 v[191:192], v[231:232], s[12:13], v[211:212]
	v_fma_f64 v[193:194], v[231:232], s[8:9], v[211:212]
	v_mul_f64 v[201:202], v[237:238], s[12:13]
	v_mul_f64 v[203:204], v[233:234], s[12:13]
	v_mul_f64 v[211:212], v[237:238], 0.5
	v_mul_f64 v[219:220], v[233:234], -0.5
	v_fma_f64 v[229:230], v[181:182], s[8:9], v[157:158]
	v_add_f64 v[207:208], v[189:190], v[207:208]
	v_add_f64 v[209:210], v[205:206], v[209:210]
	v_fma_f64 v[221:222], v[187:188], s[8:9], v[213:214]
	v_fma_f64 v[231:232], v[187:188], s[12:13], v[213:214]
	v_fma_f64 v[213:214], v[191:192], 0.5, v[201:202]
	v_fma_f64 v[233:234], v[193:194], -0.5, v[203:204]
	v_fma_f64 v[237:238], v[191:192], s[8:9], v[211:212]
	v_fma_f64 v[241:242], v[193:194], s[8:9], v[219:220]
	v_add_f64 v[181:182], v[217:218], v[229:230]
	v_add_f64 v[185:186], v[225:226], v[165:166]
	v_add_f64 v[201:202], v[217:218], -v[229:230]
	v_add_f64 v[217:218], v[225:226], -v[165:166]
	v_add_f64 v[187:188], v[223:224], v[207:208]
	v_add_f64 v[189:190], v[239:240], v[209:210]
	;; [unrolled: 1-line block ×6, first 2 shown]
	v_add_f64 v[207:208], v[223:224], -v[207:208]
	v_add_f64 v[211:212], v[235:236], -v[213:214]
	;; [unrolled: 1-line block ×6, first 2 shown]
	s_barrier
	ds_write_b128 v163, v[175:178]
	ds_write_b128 v163, v[179:182] offset:16
	ds_write_b128 v163, v[183:186] offset:32
	;; [unrolled: 1-line block ×5, first 2 shown]
	ds_write_b128 v164, v[187:190]
	ds_write_b128 v164, v[191:194] offset:16
	ds_write_b128 v164, v[203:206] offset:32
	;; [unrolled: 1-line block ×5, first 2 shown]
	s_waitcnt lgkmcnt(0)
	s_barrier
	ds_read_b128 v[163:166], v162
	ds_read_b128 v[175:178], v162 offset:512
	ds_read_b128 v[179:182], v162 offset:3072
	;; [unrolled: 1-line block ×11, first 2 shown]
	s_waitcnt lgkmcnt(7)
	v_mul_f64 v[219:220], v[54:55], v[189:190]
	v_mul_f64 v[54:55], v[54:55], v[187:188]
	;; [unrolled: 1-line block ×4, first 2 shown]
	s_waitcnt lgkmcnt(3)
	v_mul_f64 v[223:224], v[66:67], v[205:206]
	v_mul_f64 v[66:67], v[66:67], v[203:204]
	;; [unrolled: 1-line block ×4, first 2 shown]
	v_fma_f64 v[187:188], v[52:53], v[187:188], v[219:220]
	v_fma_f64 v[52:53], v[52:53], v[189:190], -v[54:55]
	v_fma_f64 v[54:55], v[48:49], v[179:180], v[221:222]
	v_fma_f64 v[48:49], v[48:49], v[181:182], -v[50:51]
	;; [unrolled: 2-line block ×4, first 2 shown]
	v_mul_f64 v[70:71], v[62:63], v[185:186]
	v_mul_f64 v[62:63], v[62:63], v[183:184]
	s_waitcnt lgkmcnt(1)
	v_mul_f64 v[179:180], v[58:59], v[213:214]
	v_mul_f64 v[58:59], v[58:59], v[211:212]
	v_add_f64 v[181:182], v[163:164], -v[54:55]
	v_add_f64 v[64:65], v[52:53], -v[64:65]
	;; [unrolled: 1-line block ×4, first 2 shown]
	v_fma_f64 v[70:71], v[60:61], v[183:184], v[70:71]
	v_fma_f64 v[60:61], v[60:61], v[185:186], -v[62:63]
	v_fma_f64 v[62:63], v[56:57], v[211:212], v[179:180]
	v_fma_f64 v[179:180], v[56:57], v[213:214], -v[58:59]
	v_fma_f64 v[54:55], v[163:164], 2.0, -v[181:182]
	v_fma_f64 v[50:51], v[52:53], 2.0, -v[64:65]
	v_mul_f64 v[52:53], v[82:83], v[201:202]
	v_mul_f64 v[58:59], v[82:83], v[199:200]
	;; [unrolled: 1-line block ×4, first 2 shown]
	s_waitcnt lgkmcnt(0)
	v_mul_f64 v[163:164], v[74:75], v[217:218]
	v_mul_f64 v[74:75], v[74:75], v[215:216]
	v_fma_f64 v[56:57], v[165:166], 2.0, -v[189:190]
	v_fma_f64 v[48:49], v[187:188], 2.0, -v[195:196]
	v_fma_f64 v[165:166], v[80:81], v[199:200], v[52:53]
	v_fma_f64 v[80:81], v[80:81], v[201:202], -v[58:59]
	v_fma_f64 v[82:83], v[76:77], v[207:208], v[82:83]
	v_fma_f64 v[76:77], v[76:77], v[209:210], -v[78:79]
	;; [unrolled: 2-line block ×3, first 2 shown]
	v_add_f64 v[50:51], v[56:57], -v[50:51]
	v_add_f64 v[48:49], v[54:55], -v[48:49]
	;; [unrolled: 1-line block ×10, first 2 shown]
	v_fma_f64 v[52:53], v[54:55], 2.0, -v[48:49]
	v_fma_f64 v[54:55], v[56:57], 2.0, -v[50:51]
	v_add_f64 v[56:57], v[181:182], v[64:65]
	v_fma_f64 v[82:83], v[175:176], 2.0, -v[163:164]
	v_fma_f64 v[175:176], v[177:178], 2.0, -v[183:184]
	v_fma_f64 v[64:65], v[66:67], 2.0, -v[70:71]
	v_fma_f64 v[66:67], v[68:69], 2.0, -v[74:75]
	v_fma_f64 v[177:178], v[191:192], 2.0, -v[179:180]
	v_fma_f64 v[187:188], v[193:194], 2.0, -v[185:186]
	v_fma_f64 v[72:73], v[165:166], 2.0, -v[78:79]
	v_fma_f64 v[80:81], v[80:81], 2.0, -v[76:77]
	v_add_f64 v[58:59], v[189:190], -v[195:196]
	v_add_f64 v[68:69], v[163:164], v[74:75]
	v_add_f64 v[64:65], v[82:83], -v[64:65]
	v_add_f64 v[66:67], v[175:176], -v[66:67]
	;; [unrolled: 1-line block ×3, first 2 shown]
	v_add_f64 v[76:77], v[179:180], v[76:77]
	v_add_f64 v[72:73], v[177:178], -v[72:73]
	v_add_f64 v[74:75], v[187:188], -v[80:81]
	;; [unrolled: 1-line block ×3, first 2 shown]
	v_fma_f64 v[60:61], v[181:182], 2.0, -v[56:57]
	v_fma_f64 v[62:63], v[189:190], 2.0, -v[58:59]
	;; [unrolled: 1-line block ×10, first 2 shown]
	s_barrier
	ds_write_b128 v168, v[52:55]
	ds_write_b128 v168, v[60:63] offset:96
	ds_write_b128 v168, v[48:51] offset:192
	ds_write_b128 v168, v[56:59] offset:288
	ds_write_b128 v169, v[80:83]
	ds_write_b128 v169, v[163:166] offset:96
	ds_write_b128 v169, v[64:67] offset:192
	ds_write_b128 v169, v[68:71] offset:288
	;; [unrolled: 4-line block ×3, first 2 shown]
	s_waitcnt lgkmcnt(0)
	s_barrier
	ds_read_b128 v[48:51], v162
	ds_read_b128 v[52:55], v162 offset:512
	ds_read_b128 v[56:59], v162 offset:3072
	;; [unrolled: 1-line block ×11, first 2 shown]
	s_waitcnt lgkmcnt(7)
	v_mul_f64 v[179:180], v[90:91], v[66:67]
	v_mul_f64 v[90:91], v[90:91], v[64:65]
	;; [unrolled: 1-line block ×4, first 2 shown]
	s_waitcnt lgkmcnt(3)
	v_mul_f64 v[183:184], v[102:103], v[82:83]
	v_mul_f64 v[102:103], v[102:103], v[80:81]
	;; [unrolled: 1-line block ×4, first 2 shown]
	v_fma_f64 v[64:65], v[88:89], v[64:65], v[179:180]
	v_fma_f64 v[66:67], v[88:89], v[66:67], -v[90:91]
	v_fma_f64 v[56:57], v[84:85], v[56:57], v[181:182]
	v_fma_f64 v[58:59], v[84:85], v[58:59], -v[86:87]
	;; [unrolled: 2-line block ×3, first 2 shown]
	v_mul_f64 v[84:85], v[98:99], v[62:63]
	v_mul_f64 v[86:87], v[98:99], v[60:61]
	s_waitcnt lgkmcnt(1)
	v_mul_f64 v[88:89], v[94:95], v[169:170]
	v_mul_f64 v[90:91], v[94:95], v[167:168]
	v_add_f64 v[94:95], v[48:49], -v[56:57]
	v_add_f64 v[98:99], v[50:51], -v[58:59]
	;; [unrolled: 1-line block ×4, first 2 shown]
	v_fma_f64 v[84:85], v[96:97], v[60:61], v[84:85]
	v_fma_f64 v[86:87], v[96:97], v[62:63], -v[86:87]
	v_fma_f64 v[88:89], v[92:93], v[167:168], v[88:89]
	v_fma_f64 v[90:91], v[92:93], v[169:170], -v[90:91]
	v_fma_f64 v[56:57], v[48:49], 2.0, -v[94:95]
	v_fma_f64 v[58:59], v[50:51], 2.0, -v[98:99]
	;; [unrolled: 1-line block ×4, first 2 shown]
	v_mul_f64 v[60:61], v[118:119], v[78:79]
	v_mul_f64 v[62:63], v[118:119], v[76:77]
	;; [unrolled: 1-line block ×4, first 2 shown]
	s_waitcnt lgkmcnt(0)
	v_mul_f64 v[92:93], v[106:107], v[177:178]
	v_mul_f64 v[96:97], v[106:107], v[175:176]
	v_fma_f64 v[72:73], v[108:109], v[72:73], v[185:186]
	v_fma_f64 v[74:75], v[108:109], v[74:75], -v[110:111]
	v_fma_f64 v[76:77], v[116:117], v[76:77], v[60:61]
	v_fma_f64 v[78:79], v[116:117], v[78:79], -v[62:63]
	;; [unrolled: 2-line block ×4, first 2 shown]
	v_add_f64 v[60:61], v[94:95], v[82:83]
	v_add_f64 v[62:63], v[98:99], -v[80:81]
	v_add_f64 v[84:85], v[52:53], -v[84:85]
	;; [unrolled: 1-line block ×9, first 2 shown]
	v_fma_f64 v[92:93], v[52:53], 2.0, -v[84:85]
	v_fma_f64 v[96:97], v[54:55], 2.0, -v[86:87]
	;; [unrolled: 1-line block ×8, first 2 shown]
	v_add_f64 v[48:49], v[56:57], -v[48:49]
	v_add_f64 v[50:51], v[58:59], -v[50:51]
	;; [unrolled: 1-line block ×4, first 2 shown]
	v_add_f64 v[68:69], v[84:85], v[82:83]
	v_add_f64 v[70:71], v[86:87], -v[80:81]
	v_add_f64 v[72:73], v[104:105], -v[72:73]
	;; [unrolled: 1-line block ×3, first 2 shown]
	v_add_f64 v[76:77], v[100:101], v[90:91]
	v_add_f64 v[78:79], v[102:103], -v[88:89]
	v_fma_f64 v[56:57], v[56:57], 2.0, -v[48:49]
	v_fma_f64 v[58:59], v[58:59], 2.0, -v[50:51]
	;; [unrolled: 1-line block ×12, first 2 shown]
	s_barrier
	ds_write_b128 v174, v[56:59]
	ds_write_b128 v172, v[52:55] offset:384
	ds_write_b128 v172, v[48:51] offset:768
	ds_write_b128 v172, v[60:63] offset:1152
	ds_write_b128 v171, v[80:83]
	ds_write_b128 v171, v[84:87] offset:384
	ds_write_b128 v171, v[64:67] offset:768
	ds_write_b128 v171, v[68:71] offset:1152
	;; [unrolled: 4-line block ×3, first 2 shown]
	s_waitcnt lgkmcnt(0)
	s_barrier
	ds_read_b128 v[48:51], v162
	ds_read_b128 v[52:55], v162 offset:512
	ds_read_b128 v[56:59], v162 offset:3072
	;; [unrolled: 1-line block ×11, first 2 shown]
	s_waitcnt lgkmcnt(7)
	v_mul_f64 v[96:97], v[130:131], v[66:67]
	v_mul_f64 v[98:99], v[130:131], v[64:65]
	;; [unrolled: 1-line block ×4, first 2 shown]
	s_waitcnt lgkmcnt(3)
	v_mul_f64 v[104:105], v[122:123], v[82:83]
	v_mul_f64 v[106:107], v[122:123], v[80:81]
	;; [unrolled: 1-line block ×4, first 2 shown]
	v_fma_f64 v[64:65], v[128:129], v[64:65], v[96:97]
	v_fma_f64 v[66:67], v[128:129], v[66:67], -v[98:99]
	v_fma_f64 v[56:57], v[124:125], v[56:57], v[100:101]
	v_fma_f64 v[58:59], v[124:125], v[58:59], -v[102:103]
	;; [unrolled: 2-line block ×3, first 2 shown]
	v_mul_f64 v[96:97], v[138:139], v[62:63]
	v_mul_f64 v[98:99], v[138:139], v[60:61]
	s_waitcnt lgkmcnt(1)
	v_mul_f64 v[100:101], v[134:135], v[90:91]
	v_mul_f64 v[102:103], v[134:135], v[88:89]
	v_add_f64 v[104:105], v[48:49], -v[56:57]
	v_add_f64 v[106:107], v[50:51], -v[58:59]
	;; [unrolled: 1-line block ×4, first 2 shown]
	v_fma_f64 v[96:97], v[136:137], v[60:61], v[96:97]
	v_fma_f64 v[98:99], v[136:137], v[62:63], -v[98:99]
	v_fma_f64 v[88:89], v[132:133], v[88:89], v[100:101]
	v_fma_f64 v[90:91], v[132:133], v[90:91], -v[102:103]
	v_fma_f64 v[56:57], v[48:49], 2.0, -v[104:105]
	v_fma_f64 v[58:59], v[50:51], 2.0, -v[106:107]
	;; [unrolled: 1-line block ×4, first 2 shown]
	v_mul_f64 v[60:61], v[142:143], v[78:79]
	v_mul_f64 v[62:63], v[142:143], v[76:77]
	;; [unrolled: 1-line block ×4, first 2 shown]
	s_waitcnt lgkmcnt(0)
	v_mul_f64 v[100:101], v[150:151], v[94:95]
	v_mul_f64 v[102:103], v[150:151], v[92:93]
	v_fma_f64 v[72:73], v[144:145], v[72:73], v[108:109]
	v_fma_f64 v[74:75], v[144:145], v[74:75], -v[110:111]
	v_fma_f64 v[76:77], v[140:141], v[76:77], v[60:61]
	v_fma_f64 v[78:79], v[140:141], v[78:79], -v[62:63]
	;; [unrolled: 2-line block ×4, first 2 shown]
	v_add_f64 v[60:61], v[104:105], v[82:83]
	v_add_f64 v[62:63], v[106:107], -v[80:81]
	v_add_f64 v[92:93], v[52:53], -v[96:97]
	;; [unrolled: 1-line block ×9, first 2 shown]
	v_fma_f64 v[88:89], v[52:53], 2.0, -v[92:93]
	v_fma_f64 v[90:91], v[54:55], 2.0, -v[94:95]
	;; [unrolled: 1-line block ×4, first 2 shown]
	v_add_f64 v[48:49], v[56:57], -v[48:49]
	v_add_f64 v[50:51], v[58:59], -v[50:51]
	v_fma_f64 v[100:101], v[68:69], 2.0, -v[96:97]
	v_fma_f64 v[102:103], v[70:71], 2.0, -v[98:99]
	v_fma_f64 v[72:73], v[76:77], 2.0, -v[84:85]
	v_fma_f64 v[74:75], v[78:79], 2.0, -v[86:87]
	v_add_f64 v[64:65], v[88:89], -v[64:65]
	v_add_f64 v[66:67], v[90:91], -v[66:67]
	v_add_f64 v[68:69], v[92:93], v[82:83]
	v_add_f64 v[70:71], v[94:95], -v[80:81]
	v_fma_f64 v[56:57], v[56:57], 2.0, -v[48:49]
	v_fma_f64 v[58:59], v[58:59], 2.0, -v[50:51]
	v_add_f64 v[72:73], v[100:101], -v[72:73]
	v_add_f64 v[74:75], v[102:103], -v[74:75]
	v_add_f64 v[76:77], v[96:97], v[86:87]
	v_add_f64 v[78:79], v[98:99], -v[84:85]
	v_fma_f64 v[52:53], v[104:105], 2.0, -v[60:61]
	v_fma_f64 v[54:55], v[106:107], 2.0, -v[62:63]
	;; [unrolled: 1-line block ×6, first 2 shown]
	v_mad_u64_u32 v[157:158], s[6:7], s2, v156, 0
	v_fma_f64 v[88:89], v[100:101], 2.0, -v[72:73]
	v_fma_f64 v[90:91], v[102:103], 2.0, -v[74:75]
	;; [unrolled: 1-line block ×4, first 2 shown]
	ds_write_b128 v162, v[56:59]
	ds_write_b128 v162, v[52:55] offset:1536
	ds_write_b128 v162, v[48:51] offset:3072
	ds_write_b128 v161, v[60:63] offset:4608
	ds_write_b128 v162, v[80:83] offset:512
	ds_write_b128 v161, v[84:87] offset:2048
	ds_write_b128 v162, v[64:67] offset:3584
	ds_write_b128 v161, v[68:71] offset:5120
	ds_write_b128 v162, v[88:91] offset:1024
	ds_write_b128 v161, v[92:95] offset:2560
	ds_write_b128 v161, v[72:75] offset:4096
	ds_write_b128 v161, v[76:79] offset:5632
	s_waitcnt lgkmcnt(0)
	s_barrier
	ds_read_b128 v[48:51], v162
	v_mov_b32_e32 v52, v158
	v_mad_u64_u32 v[58:59], s[2:3], s3, v156, v[52:53]
	ds_read_b128 v[52:55], v162 offset:512
	s_waitcnt lgkmcnt(1)
	v_mul_f64 v[56:57], v[2:3], v[50:51]
	v_mul_f64 v[2:3], v[2:3], v[48:49]
	v_mad_u64_u32 v[60:61], s[2:3], s0, v159, 0
	s_mov_b32 s2, 0x55555555
	s_mov_b32 s3, 0x3f655555
	v_mov_b32_e32 v158, v58
	v_lshlrev_b64 v[62:63], 4, v[157:158]
	v_fma_f64 v[48:49], v[0:1], v[48:49], v[56:57]
	v_fma_f64 v[2:3], v[0:1], v[50:51], -v[2:3]
	v_mov_b32_e32 v0, v61
	v_mad_u64_u32 v[56:57], s[6:7], s1, v159, v[0:1]
	v_mov_b32_e32 v66, s5
	v_add_co_u32_e32 v67, vcc, s4, v62
	v_mul_f64 v[0:1], v[48:49], s[2:3]
	ds_read_b128 v[48:51], v162 offset:1024
	v_mov_b32_e32 v61, v56
	ds_read_b128 v[56:59], v162 offset:1536
	v_mul_f64 v[2:3], v[2:3], s[2:3]
	v_addc_co_u32_e32 v68, vcc, v66, v63, vcc
	s_waitcnt lgkmcnt(1)
	v_mul_f64 v[64:65], v[6:7], v[50:51]
	v_mul_f64 v[6:7], v[6:7], v[48:49]
	v_lshlrev_b64 v[60:61], 4, v[60:61]
	s_lshl_b64 s[4:5], s[0:1], 10
	v_add_co_u32_e32 v66, vcc, v67, v60
	v_addc_co_u32_e32 v67, vcc, v68, v61, vcc
	v_fma_f64 v[62:63], v[4:5], v[48:49], v[64:65]
	v_fma_f64 v[64:65], v[4:5], v[50:51], -v[6:7]
	ds_read_b128 v[4:7], v161 offset:2048
	ds_read_b128 v[48:51], v161 offset:2560
	global_store_dwordx4 v[66:67], v[0:3], off
	v_mov_b32_e32 v72, s5
	v_add_co_u32_e32 v66, vcc, s4, v66
	s_waitcnt lgkmcnt(1)
	v_mul_f64 v[68:69], v[10:11], v[6:7]
	v_mul_f64 v[10:11], v[10:11], v[4:5]
	;; [unrolled: 1-line block ×3, first 2 shown]
	ds_read_b128 v[60:63], v162 offset:3072
	v_mul_f64 v[2:3], v[64:65], s[2:3]
	v_addc_co_u32_e32 v67, vcc, v67, v72, vcc
	s_mulk_i32 s1, 0xee00
	v_fma_f64 v[64:65], v[8:9], v[4:5], v[68:69]
	v_fma_f64 v[68:69], v[8:9], v[6:7], -v[10:11]
	ds_read_b128 v[4:7], v162 offset:3584
	s_waitcnt lgkmcnt(1)
	v_mul_f64 v[70:71], v[18:19], v[62:63]
	v_mul_f64 v[18:19], v[18:19], v[60:61]
	global_store_dwordx4 v[66:67], v[0:3], off
	ds_read_b128 v[8:11], v161 offset:4096
	v_add_co_u32_e32 v66, vcc, s4, v66
	v_mul_f64 v[0:1], v[64:65], s[2:3]
	v_mul_f64 v[2:3], v[68:69], s[2:3]
	v_fma_f64 v[60:61], v[16:17], v[60:61], v[70:71]
	v_fma_f64 v[64:65], v[16:17], v[62:63], -v[18:19]
	ds_read_b128 v[16:19], v161 offset:4608
	s_waitcnt lgkmcnt(1)
	v_mul_f64 v[68:69], v[14:15], v[10:11]
	v_mul_f64 v[14:15], v[14:15], v[8:9]
	v_addc_co_u32_e32 v67, vcc, v67, v72, vcc
	global_store_dwordx4 v[66:67], v[0:3], off
	v_add_co_u32_e32 v66, vcc, s4, v66
	v_mul_f64 v[0:1], v[60:61], s[2:3]
	ds_read_b128 v[60:63], v161 offset:5120
	v_mul_f64 v[2:3], v[64:65], s[2:3]
	v_fma_f64 v[64:65], v[12:13], v[8:9], v[68:69]
	v_fma_f64 v[12:13], v[12:13], v[10:11], -v[14:15]
	ds_read_b128 v[8:11], v161 offset:5632
	s_waitcnt lgkmcnt(1)
	v_mul_f64 v[14:15], v[26:27], v[62:63]
	v_mul_f64 v[26:27], v[26:27], v[60:61]
	v_addc_co_u32_e32 v67, vcc, v67, v72, vcc
	global_store_dwordx4 v[66:67], v[0:3], off
	s_nop 0
	v_mul_f64 v[0:1], v[64:65], s[2:3]
	v_mul_f64 v[2:3], v[12:13], s[2:3]
	v_fma_f64 v[12:13], v[24:25], v[60:61], v[14:15]
	v_fma_f64 v[14:15], v[24:25], v[62:63], -v[26:27]
	v_mul_f64 v[24:25], v[22:23], v[54:55]
	v_mul_f64 v[22:23], v[22:23], v[52:53]
	v_add_co_u32_e32 v26, vcc, s4, v66
	v_addc_co_u32_e32 v27, vcc, v67, v72, vcc
	global_store_dwordx4 v[26:27], v[0:3], off
	s_nop 0
	v_mul_f64 v[0:1], v[12:13], s[2:3]
	v_mul_f64 v[2:3], v[14:15], s[2:3]
	v_fma_f64 v[12:13], v[20:21], v[52:53], v[24:25]
	v_fma_f64 v[14:15], v[20:21], v[54:55], -v[22:23]
	v_mul_f64 v[20:21], v[30:31], v[58:59]
	v_mul_f64 v[22:23], v[30:31], v[56:57]
	v_add_co_u32_e32 v24, vcc, s4, v26
	v_addc_co_u32_e32 v25, vcc, v27, v72, vcc
	global_store_dwordx4 v[24:25], v[0:3], off
	s_nop 0
	v_mul_f64 v[0:1], v[12:13], s[2:3]
	v_mul_f64 v[2:3], v[14:15], s[2:3]
	v_mad_u64_u32 v[12:13], s[6:7], s0, v160, v[24:25]
	v_fma_f64 v[14:15], v[28:29], v[56:57], v[20:21]
	v_fma_f64 v[20:21], v[28:29], v[58:59], -v[22:23]
	v_mul_f64 v[22:23], v[34:35], v[50:51]
	v_mul_f64 v[24:25], v[34:35], v[48:49]
	s_sub_i32 s0, s1, s0
	v_add_u32_e32 v13, s0, v13
	global_store_dwordx4 v[12:13], v[0:3], off
	v_add_co_u32_e32 v12, vcc, s4, v12
	v_mul_f64 v[0:1], v[14:15], s[2:3]
	v_mul_f64 v[2:3], v[20:21], s[2:3]
	v_fma_f64 v[14:15], v[32:33], v[48:49], v[22:23]
	v_fma_f64 v[20:21], v[32:33], v[50:51], -v[24:25]
	v_mul_f64 v[22:23], v[38:39], v[6:7]
	v_mul_f64 v[24:25], v[38:39], v[4:5]
	v_addc_co_u32_e32 v13, vcc, v13, v72, vcc
	global_store_dwordx4 v[12:13], v[0:3], off
	s_nop 0
	v_mul_f64 v[0:1], v[14:15], s[2:3]
	v_mul_f64 v[2:3], v[20:21], s[2:3]
	v_fma_f64 v[4:5], v[36:37], v[4:5], v[22:23]
	v_fma_f64 v[6:7], v[36:37], v[6:7], -v[24:25]
	v_mul_f64 v[14:15], v[42:43], v[18:19]
	v_mul_f64 v[20:21], v[42:43], v[16:17]
	s_waitcnt lgkmcnt(0)
	v_mul_f64 v[22:23], v[46:47], v[10:11]
	v_mul_f64 v[24:25], v[46:47], v[8:9]
	v_add_co_u32_e32 v12, vcc, s4, v12
	v_addc_co_u32_e32 v13, vcc, v13, v72, vcc
	global_store_dwordx4 v[12:13], v[0:3], off
	v_add_co_u32_e32 v12, vcc, s4, v12
	v_mul_f64 v[0:1], v[4:5], s[2:3]
	v_mul_f64 v[2:3], v[6:7], s[2:3]
	v_fma_f64 v[4:5], v[40:41], v[16:17], v[14:15]
	v_fma_f64 v[6:7], v[40:41], v[18:19], -v[20:21]
	v_fma_f64 v[8:9], v[44:45], v[8:9], v[22:23]
	v_fma_f64 v[10:11], v[44:45], v[10:11], -v[24:25]
	v_addc_co_u32_e32 v13, vcc, v13, v72, vcc
	global_store_dwordx4 v[12:13], v[0:3], off
	v_mul_f64 v[4:5], v[4:5], s[2:3]
	v_mul_f64 v[6:7], v[6:7], s[2:3]
	;; [unrolled: 1-line block ×4, first 2 shown]
	v_add_co_u32_e32 v8, vcc, s4, v12
	v_addc_co_u32_e32 v9, vcc, v13, v72, vcc
	global_store_dwordx4 v[8:9], v[4:7], off
	s_nop 0
	v_add_co_u32_e32 v4, vcc, s4, v8
	v_addc_co_u32_e32 v5, vcc, v9, v72, vcc
	global_store_dwordx4 v[4:5], v[0:3], off
.LBB0_2:
	s_endpgm
	.section	.rodata,"a",@progbits
	.p2align	6, 0x0
	.amdhsa_kernel bluestein_single_fwd_len384_dim1_dp_op_CI_CI
		.amdhsa_group_segment_fixed_size 24576
		.amdhsa_private_segment_fixed_size 0
		.amdhsa_kernarg_size 104
		.amdhsa_user_sgpr_count 6
		.amdhsa_user_sgpr_private_segment_buffer 1
		.amdhsa_user_sgpr_dispatch_ptr 0
		.amdhsa_user_sgpr_queue_ptr 0
		.amdhsa_user_sgpr_kernarg_segment_ptr 1
		.amdhsa_user_sgpr_dispatch_id 0
		.amdhsa_user_sgpr_flat_scratch_init 0
		.amdhsa_user_sgpr_private_segment_size 0
		.amdhsa_uses_dynamic_stack 0
		.amdhsa_system_sgpr_private_segment_wavefront_offset 0
		.amdhsa_system_sgpr_workgroup_id_x 1
		.amdhsa_system_sgpr_workgroup_id_y 0
		.amdhsa_system_sgpr_workgroup_id_z 0
		.amdhsa_system_sgpr_workgroup_info 0
		.amdhsa_system_vgpr_workitem_id 0
		.amdhsa_next_free_vgpr 243
		.amdhsa_next_free_sgpr 20
		.amdhsa_reserve_vcc 1
		.amdhsa_reserve_flat_scratch 0
		.amdhsa_float_round_mode_32 0
		.amdhsa_float_round_mode_16_64 0
		.amdhsa_float_denorm_mode_32 3
		.amdhsa_float_denorm_mode_16_64 3
		.amdhsa_dx10_clamp 1
		.amdhsa_ieee_mode 1
		.amdhsa_fp16_overflow 0
		.amdhsa_exception_fp_ieee_invalid_op 0
		.amdhsa_exception_fp_denorm_src 0
		.amdhsa_exception_fp_ieee_div_zero 0
		.amdhsa_exception_fp_ieee_overflow 0
		.amdhsa_exception_fp_ieee_underflow 0
		.amdhsa_exception_fp_ieee_inexact 0
		.amdhsa_exception_int_div_zero 0
	.end_amdhsa_kernel
	.text
.Lfunc_end0:
	.size	bluestein_single_fwd_len384_dim1_dp_op_CI_CI, .Lfunc_end0-bluestein_single_fwd_len384_dim1_dp_op_CI_CI
                                        ; -- End function
	.section	.AMDGPU.csdata,"",@progbits
; Kernel info:
; codeLenInByte = 10824
; NumSgprs: 24
; NumVgprs: 243
; ScratchSize: 0
; MemoryBound: 0
; FloatMode: 240
; IeeeMode: 1
; LDSByteSize: 24576 bytes/workgroup (compile time only)
; SGPRBlocks: 2
; VGPRBlocks: 60
; NumSGPRsForWavesPerEU: 24
; NumVGPRsForWavesPerEU: 243
; Occupancy: 1
; WaveLimiterHint : 1
; COMPUTE_PGM_RSRC2:SCRATCH_EN: 0
; COMPUTE_PGM_RSRC2:USER_SGPR: 6
; COMPUTE_PGM_RSRC2:TRAP_HANDLER: 0
; COMPUTE_PGM_RSRC2:TGID_X_EN: 1
; COMPUTE_PGM_RSRC2:TGID_Y_EN: 0
; COMPUTE_PGM_RSRC2:TGID_Z_EN: 0
; COMPUTE_PGM_RSRC2:TIDIG_COMP_CNT: 0
	.type	__hip_cuid_65e3b1fca63d261d,@object ; @__hip_cuid_65e3b1fca63d261d
	.section	.bss,"aw",@nobits
	.globl	__hip_cuid_65e3b1fca63d261d
__hip_cuid_65e3b1fca63d261d:
	.byte	0                               ; 0x0
	.size	__hip_cuid_65e3b1fca63d261d, 1

	.ident	"AMD clang version 19.0.0git (https://github.com/RadeonOpenCompute/llvm-project roc-6.4.0 25133 c7fe45cf4b819c5991fe208aaa96edf142730f1d)"
	.section	".note.GNU-stack","",@progbits
	.addrsig
	.addrsig_sym __hip_cuid_65e3b1fca63d261d
	.amdgpu_metadata
---
amdhsa.kernels:
  - .args:
      - .actual_access:  read_only
        .address_space:  global
        .offset:         0
        .size:           8
        .value_kind:     global_buffer
      - .actual_access:  read_only
        .address_space:  global
        .offset:         8
        .size:           8
        .value_kind:     global_buffer
      - .actual_access:  read_only
        .address_space:  global
        .offset:         16
        .size:           8
        .value_kind:     global_buffer
      - .actual_access:  read_only
        .address_space:  global
        .offset:         24
        .size:           8
        .value_kind:     global_buffer
      - .actual_access:  read_only
        .address_space:  global
        .offset:         32
        .size:           8
        .value_kind:     global_buffer
      - .offset:         40
        .size:           8
        .value_kind:     by_value
      - .address_space:  global
        .offset:         48
        .size:           8
        .value_kind:     global_buffer
      - .address_space:  global
        .offset:         56
        .size:           8
        .value_kind:     global_buffer
      - .address_space:  global
        .offset:         64
        .size:           8
        .value_kind:     global_buffer
      - .address_space:  global
        .offset:         72
        .size:           8
        .value_kind:     global_buffer
      - .offset:         80
        .size:           4
        .value_kind:     by_value
      - .address_space:  global
        .offset:         88
        .size:           8
        .value_kind:     global_buffer
      - .address_space:  global
        .offset:         96
        .size:           8
        .value_kind:     global_buffer
    .group_segment_fixed_size: 24576
    .kernarg_segment_align: 8
    .kernarg_segment_size: 104
    .language:       OpenCL C
    .language_version:
      - 2
      - 0
    .max_flat_workgroup_size: 128
    .name:           bluestein_single_fwd_len384_dim1_dp_op_CI_CI
    .private_segment_fixed_size: 0
    .sgpr_count:     24
    .sgpr_spill_count: 0
    .symbol:         bluestein_single_fwd_len384_dim1_dp_op_CI_CI.kd
    .uniform_work_group_size: 1
    .uses_dynamic_stack: false
    .vgpr_count:     243
    .vgpr_spill_count: 0
    .wavefront_size: 64
amdhsa.target:   amdgcn-amd-amdhsa--gfx906
amdhsa.version:
  - 1
  - 2
...

	.end_amdgpu_metadata
